;; amdgpu-corpus repo=ROCm/rocFFT kind=compiled arch=gfx906 opt=O3
	.text
	.amdgcn_target "amdgcn-amd-amdhsa--gfx906"
	.amdhsa_code_object_version 6
	.protected	bluestein_single_fwd_len8_dim1_sp_op_CI_CI ; -- Begin function bluestein_single_fwd_len8_dim1_sp_op_CI_CI
	.globl	bluestein_single_fwd_len8_dim1_sp_op_CI_CI
	.p2align	8
	.type	bluestein_single_fwd_len8_dim1_sp_op_CI_CI,@function
bluestein_single_fwd_len8_dim1_sp_op_CI_CI: ; @bluestein_single_fwd_len8_dim1_sp_op_CI_CI
; %bb.0:
	s_load_dwordx4 s[0:3], s[4:5], 0x28
	v_lshrrev_b32_e32 v1, 2, v0
	v_lshl_or_b32 v8, s6, 4, v1
	v_mov_b32_e32 v9, 0
	s_waitcnt lgkmcnt(0)
	v_cmp_gt_u64_e32 vcc, s[0:1], v[8:9]
	s_and_saveexec_b64 s[0:1], vcc
	s_cbranch_execz .LBB0_15
; %bb.1:
	s_load_dwordx2 s[12:13], s[4:5], 0x0
	s_load_dwordx2 s[6:7], s[4:5], 0x38
	v_and_b32_e32 v11, 3, v0
	v_lshlrev_b32_e32 v9, 3, v1
	v_cmp_gt_u32_e32 vcc, 2, v11
	v_lshlrev_b32_e32 v15, 3, v11
	v_or_b32_e32 v16, v9, v11
	v_or_b32_e32 v13, 2, v11
	v_add_lshl_u32 v14, v9, v11, 3
	v_or_b32_e32 v12, 6, v11
	s_and_saveexec_b64 s[14:15], vcc
	s_cbranch_execz .LBB0_3
; %bb.2:
	s_load_dwordx2 s[0:1], s[4:5], 0x18
	v_mov_b32_e32 v10, s3
	s_waitcnt lgkmcnt(0)
	s_load_dwordx4 s[8:11], s[0:1], 0x0
	s_waitcnt lgkmcnt(0)
	v_mad_u64_u32 v[0:1], s[0:1], s10, v8, 0
	v_mad_u64_u32 v[2:3], s[0:1], s8, v11, 0
	;; [unrolled: 1-line block ×5, first 2 shown]
	v_mov_b32_e32 v1, v4
	v_lshlrev_b64 v[0:1], 3, v[0:1]
	v_mov_b32_e32 v3, v5
	v_add_co_u32_e64 v25, s[0:1], s2, v0
	v_mov_b32_e32 v0, v7
	v_addc_co_u32_e64 v10, s[0:1], v10, v1, s[0:1]
	v_mad_u64_u32 v[0:1], s[0:1], s9, v13, v[0:1]
	v_lshlrev_b64 v[2:3], 3, v[2:3]
	v_add_co_u32_e64 v1, s[0:1], v25, v2
	v_mov_b32_e32 v7, v0
	v_addc_co_u32_e64 v2, s[0:1], v10, v3, s[0:1]
	v_lshlrev_b64 v[3:4], 3, v[6:7]
	v_mad_u64_u32 v[5:6], s[0:1], s8, v12, 0
	v_add_co_u32_e64 v3, s[0:1], v25, v3
	v_mov_b32_e32 v0, v6
	v_mad_u64_u32 v[6:7], s[2:3], s9, v12, v[0:1]
	v_addc_co_u32_e64 v4, s[0:1], v10, v4, s[0:1]
	s_lshl_b64 s[0:1], s[8:9], 5
	v_mov_b32_e32 v18, s1
	v_add_co_u32_e64 v17, s[0:1], s0, v1
	v_lshlrev_b64 v[5:6], 3, v[5:6]
	v_addc_co_u32_e64 v18, s[0:1], v2, v18, s[0:1]
	global_load_dwordx2 v[0:1], v[1:2], off
	s_nop 0
	global_load_dwordx2 v[19:20], v15, s[12:13]
	global_load_dwordx2 v[21:22], v15, s[12:13] offset:16
	global_load_dwordx2 v[23:24], v[3:4], off
	v_add_co_u32_e64 v2, s[0:1], v25, v5
	v_addc_co_u32_e64 v3, s[0:1], v10, v6, s[0:1]
	global_load_dwordx2 v[4:5], v[17:18], off
	global_load_dwordx2 v[6:7], v15, s[12:13] offset:32
	global_load_dwordx2 v[25:26], v15, s[12:13] offset:48
	global_load_dwordx2 v[27:28], v[2:3], off
	v_lshlrev_b32_e32 v10, 3, v16
	s_waitcnt vmcnt(6)
	v_mul_f32_e32 v3, v0, v20
	v_mul_f32_e32 v2, v1, v20
	s_waitcnt vmcnt(4)
	v_mul_f32_e32 v18, v23, v22
	v_mul_f32_e32 v17, v24, v22
	v_fma_f32 v3, v1, v19, -v3
	v_fmac_f32_e32 v2, v0, v19
	s_waitcnt vmcnt(2)
	v_mul_f32_e32 v1, v4, v7
	v_mul_f32_e32 v0, v5, v7
	v_fma_f32 v18, v24, v21, -v18
	v_fmac_f32_e32 v17, v23, v21
	;; [unrolled: 5-line block ×3, first 2 shown]
	ds_write_b64 v10, v[2:3]
	v_fmac_f32_e32 v19, v27, v25
	v_fma_f32 v20, v28, v25, -v7
	ds_write2_b64 v14, v[17:18], v[0:1] offset0:2 offset1:4
	ds_write_b64 v14, v[19:20] offset:48
.LBB0_3:
	s_or_b64 exec, exec, s[14:15]
	s_load_dwordx2 s[0:1], s[4:5], 0x20
	s_load_dwordx2 s[8:9], s[4:5], 0x8
	s_waitcnt lgkmcnt(0)
	; wave barrier
	s_waitcnt lgkmcnt(0)
                                        ; implicit-def: $vgpr5
                                        ; implicit-def: $vgpr2
	s_and_saveexec_b64 s[2:3], vcc
	s_cbranch_execz .LBB0_5
; %bb.4:
	v_lshlrev_b32_e32 v4, 3, v16
	ds_read2_b64 v[0:3], v4 offset1:2
	ds_read2_b64 v[4:7], v4 offset0:4 offset1:6
.LBB0_5:
	s_or_b64 exec, exec, s[2:3]
	s_waitcnt lgkmcnt(0)
	v_sub_f32_e32 v4, v0, v4
	v_sub_f32_e32 v10, v1, v5
	;; [unrolled: 1-line block ×4, first 2 shown]
	v_fma_f32 v5, v0, 2.0, -v4
	v_fma_f32 v18, v1, 2.0, -v10
	v_fma_f32 v0, v2, 2.0, -v6
	v_fma_f32 v1, v3, 2.0, -v7
	v_sub_f32_e32 v0, v5, v0
	v_sub_f32_e32 v1, v18, v1
	;; [unrolled: 1-line block ×3, first 2 shown]
	v_add_f32_e32 v3, v6, v10
	v_lshlrev_b32_e32 v17, 3, v9
	s_waitcnt lgkmcnt(0)
	; wave barrier
	s_and_saveexec_b64 s[2:3], vcc
	s_cbranch_execz .LBB0_7
; %bb.6:
	v_fma_f32 v21, v10, 2.0, -v3
	v_fma_f32 v20, v4, 2.0, -v2
	;; [unrolled: 1-line block ×4, first 2 shown]
	v_lshl_or_b32 v4, v11, 5, v17
	ds_write_b128 v4, v[18:21]
	ds_write_b128 v4, v[0:3] offset:16
.LBB0_7:
	s_or_b64 exec, exec, s[2:3]
	s_load_dwordx4 s[0:3], s[0:1], 0x0
	s_waitcnt lgkmcnt(0)
	; wave barrier
	s_waitcnt lgkmcnt(0)
	global_load_dwordx2 v[9:10], v15, s[8:9]
	v_lshlrev_b32_e32 v16, 3, v16
	ds_read2_b64 v[4:7], v16 offset1:4
	s_waitcnt vmcnt(0) lgkmcnt(0)
	v_mul_f32_e32 v18, v7, v10
	v_mul_f32_e32 v19, v6, v10
	v_fma_f32 v6, v6, v9, -v18
	v_fmac_f32_e32 v19, v7, v9
	v_sub_f32_e32 v6, v4, v6
	v_sub_f32_e32 v7, v5, v19
	v_fma_f32 v4, v4, 2.0, -v6
	v_fma_f32 v5, v5, 2.0, -v7
	ds_write2_b64 v16, v[4:5], v[6:7] offset1:4
	s_waitcnt lgkmcnt(0)
	; wave barrier
	s_waitcnt lgkmcnt(0)
	s_and_saveexec_b64 s[4:5], vcc
	s_cbranch_execz .LBB0_9
; %bb.8:
	global_load_dwordx2 v[18:19], v15, s[12:13] offset:64
	s_add_u32 s8, s12, 64
	s_addc_u32 s9, s13, 0
	global_load_dwordx2 v[22:23], v15, s[8:9] offset:16
	global_load_dwordx2 v[24:25], v15, s[8:9] offset:32
	;; [unrolled: 1-line block ×3, first 2 shown]
	ds_read_b64 v[20:21], v16
	s_waitcnt vmcnt(3) lgkmcnt(0)
	v_mul_f32_e32 v28, v21, v19
	v_mul_f32_e32 v29, v20, v19
	v_fma_f32 v28, v20, v18, -v28
	v_fmac_f32_e32 v29, v21, v18
	ds_write_b64 v16, v[28:29]
	ds_read2_b64 v[18:21], v14 offset0:2 offset1:4
	ds_read_b64 v[28:29], v14 offset:48
	s_waitcnt vmcnt(2) lgkmcnt(1)
	v_mul_f32_e32 v30, v19, v23
	v_mul_f32_e32 v31, v18, v23
	s_waitcnt vmcnt(1)
	v_mul_f32_e32 v32, v21, v25
	v_mul_f32_e32 v23, v20, v25
	s_waitcnt vmcnt(0) lgkmcnt(0)
	v_mul_f32_e32 v33, v29, v27
	v_mul_f32_e32 v25, v28, v27
	v_fma_f32 v30, v18, v22, -v30
	v_fmac_f32_e32 v31, v19, v22
	v_fma_f32 v22, v20, v24, -v32
	v_fmac_f32_e32 v23, v21, v24
	;; [unrolled: 2-line block ×3, first 2 shown]
	ds_write2_b64 v14, v[30:31], v[22:23] offset0:2 offset1:4
	ds_write_b64 v14, v[24:25] offset:48
.LBB0_9:
	s_or_b64 exec, exec, s[4:5]
	s_waitcnt lgkmcnt(0)
	; wave barrier
	s_waitcnt lgkmcnt(0)
	s_and_saveexec_b64 s[4:5], vcc
	s_cbranch_execz .LBB0_11
; %bb.10:
	ds_read2_b64 v[4:7], v16 offset1:2
	ds_read2_b64 v[0:3], v16 offset0:4 offset1:6
.LBB0_11:
	s_or_b64 exec, exec, s[4:5]
	s_waitcnt lgkmcnt(0)
	; wave barrier
	s_waitcnt lgkmcnt(0)
	s_and_saveexec_b64 s[4:5], vcc
	s_cbranch_execz .LBB0_13
; %bb.12:
	v_sub_f32_e32 v1, v5, v1
	v_sub_f32_e32 v2, v6, v2
	;; [unrolled: 1-line block ×5, first 2 shown]
	v_fma_f32 v25, v1, 2.0, -v21
	v_add_f32_e32 v20, v3, v0
	v_fma_f32 v1, v5, 2.0, -v1
	v_fma_f32 v3, v7, 2.0, -v3
	v_sub_f32_e32 v19, v1, v3
	v_fma_f32 v24, v0, 2.0, -v20
	v_fma_f32 v23, v1, 2.0, -v19
	;; [unrolled: 1-line block ×4, first 2 shown]
	v_sub_f32_e32 v18, v0, v1
	v_fma_f32 v22, v0, 2.0, -v18
	v_lshl_or_b32 v0, v11, 5, v17
	ds_write_b128 v0, v[22:25]
	ds_write_b128 v0, v[18:21] offset:16
.LBB0_13:
	s_or_b64 exec, exec, s[4:5]
	s_waitcnt lgkmcnt(0)
	; wave barrier
	s_waitcnt lgkmcnt(0)
	ds_read2_b64 v[0:3], v16 offset1:4
	s_waitcnt lgkmcnt(0)
	v_mul_f32_e32 v4, v10, v3
	v_mul_f32_e32 v5, v10, v2
	v_fmac_f32_e32 v4, v9, v2
	v_fma_f32 v3, v9, v3, -v5
	v_sub_f32_e32 v2, v0, v4
	v_sub_f32_e32 v3, v1, v3
	v_fma_f32 v0, v0, 2.0, -v2
	v_fma_f32 v1, v1, 2.0, -v3
	ds_write2_b64 v16, v[0:1], v[2:3] offset1:4
	s_waitcnt lgkmcnt(0)
	; wave barrier
	s_waitcnt lgkmcnt(0)
	s_and_b64 exec, exec, vcc
	s_cbranch_execz .LBB0_15
; %bb.14:
	global_load_dwordx2 v[4:5], v15, s[12:13]
	global_load_dwordx2 v[6:7], v15, s[12:13] offset:16
	global_load_dwordx2 v[9:10], v15, s[12:13] offset:32
	;; [unrolled: 1-line block ×3, first 2 shown]
	v_mad_u64_u32 v[19:20], s[4:5], s2, v8, 0
	v_mad_u64_u32 v[21:22], s[4:5], s0, v11, 0
	;; [unrolled: 1-line block ×5, first 2 shown]
	v_mov_b32_e32 v8, v22
	v_mov_b32_e32 v31, s7
	;; [unrolled: 1-line block ×3, first 2 shown]
	ds_read_b64 v[15:16], v16
	ds_read2_b64 v[0:3], v14 offset0:2 offset1:4
	s_waitcnt vmcnt(2) lgkmcnt(0)
	v_mul_f32_e32 v27, v1, v7
	s_waitcnt vmcnt(1)
	v_mad_u64_u32 v[28:29], s[2:3], s1, v11, v[8:9]
	v_mov_b32_e32 v8, v24
	v_mad_u64_u32 v[29:30], s[2:3], s1, v13, v[8:9]
	ds_read_b64 v[13:14], v14 offset:48
	v_mov_b32_e32 v8, v26
	s_lshl_b64 s[2:3], s[0:1], 5
	v_mad_u64_u32 v[11:12], s[0:1], s1, v12, v[8:9]
	v_mov_b32_e32 v22, v28
	v_mov_b32_e32 v24, v29
	;; [unrolled: 1-line block ×3, first 2 shown]
	v_lshlrev_b64 v[11:12], 3, v[19:20]
	v_lshlrev_b64 v[19:20], 3, v[21:22]
	;; [unrolled: 1-line block ×4, first 2 shown]
	v_add_co_u32_e32 v25, vcc, s6, v11
	v_addc_co_u32_e32 v26, vcc, v31, v12, vcc
	v_add_co_u32_e32 v11, vcc, v25, v19
	v_addc_co_u32_e32 v12, vcc, v26, v20, vcc
	;; [unrolled: 2-line block ×3, first 2 shown]
	v_mov_b32_e32 v8, s3
	v_add_co_u32_e32 v21, vcc, s2, v11
	v_addc_co_u32_e32 v22, vcc, v12, v8, vcc
	v_mul_f32_e32 v8, v16, v5
	v_mul_f32_e32 v5, v15, v5
	;; [unrolled: 1-line block ×5, first 2 shown]
	v_fmac_f32_e32 v8, v15, v4
	v_fma_f32 v4, v4, v16, -v5
	s_waitcnt vmcnt(0) lgkmcnt(0)
	v_mul_f32_e32 v15, v14, v18
	v_mul_f32_e32 v5, v13, v18
	v_fmac_f32_e32 v27, v0, v6
	v_fma_f32 v6, v6, v1, -v7
	v_fmac_f32_e32 v28, v2, v9
	v_fma_f32 v7, v9, v3, -v10
	v_mul_f32_e32 v0, 0x3e000000, v8
	v_mul_f32_e32 v1, 0x3e000000, v4
	v_fmac_f32_e32 v15, v13, v17
	v_fma_f32 v9, v17, v14, -v5
	v_mul_f32_e32 v2, 0x3e000000, v27
	v_mul_f32_e32 v3, 0x3e000000, v6
	;; [unrolled: 1-line block ×4, first 2 shown]
	global_store_dwordx2 v[11:12], v[0:1], off
	global_store_dwordx2 v[19:20], v[2:3], off
	;; [unrolled: 1-line block ×3, first 2 shown]
	v_add_co_u32_e32 v0, vcc, v25, v23
	v_mul_f32_e32 v6, 0x3e000000, v15
	v_mul_f32_e32 v7, 0x3e000000, v9
	v_addc_co_u32_e32 v1, vcc, v26, v24, vcc
	global_store_dwordx2 v[0:1], v[6:7], off
.LBB0_15:
	s_endpgm
	.section	.rodata,"a",@progbits
	.p2align	6, 0x0
	.amdhsa_kernel bluestein_single_fwd_len8_dim1_sp_op_CI_CI
		.amdhsa_group_segment_fixed_size 1024
		.amdhsa_private_segment_fixed_size 0
		.amdhsa_kernarg_size 104
		.amdhsa_user_sgpr_count 6
		.amdhsa_user_sgpr_private_segment_buffer 1
		.amdhsa_user_sgpr_dispatch_ptr 0
		.amdhsa_user_sgpr_queue_ptr 0
		.amdhsa_user_sgpr_kernarg_segment_ptr 1
		.amdhsa_user_sgpr_dispatch_id 0
		.amdhsa_user_sgpr_flat_scratch_init 0
		.amdhsa_user_sgpr_private_segment_size 0
		.amdhsa_uses_dynamic_stack 0
		.amdhsa_system_sgpr_private_segment_wavefront_offset 0
		.amdhsa_system_sgpr_workgroup_id_x 1
		.amdhsa_system_sgpr_workgroup_id_y 0
		.amdhsa_system_sgpr_workgroup_id_z 0
		.amdhsa_system_sgpr_workgroup_info 0
		.amdhsa_system_vgpr_workitem_id 0
		.amdhsa_next_free_vgpr 34
		.amdhsa_next_free_sgpr 16
		.amdhsa_reserve_vcc 1
		.amdhsa_reserve_flat_scratch 0
		.amdhsa_float_round_mode_32 0
		.amdhsa_float_round_mode_16_64 0
		.amdhsa_float_denorm_mode_32 3
		.amdhsa_float_denorm_mode_16_64 3
		.amdhsa_dx10_clamp 1
		.amdhsa_ieee_mode 1
		.amdhsa_fp16_overflow 0
		.amdhsa_exception_fp_ieee_invalid_op 0
		.amdhsa_exception_fp_denorm_src 0
		.amdhsa_exception_fp_ieee_div_zero 0
		.amdhsa_exception_fp_ieee_overflow 0
		.amdhsa_exception_fp_ieee_underflow 0
		.amdhsa_exception_fp_ieee_inexact 0
		.amdhsa_exception_int_div_zero 0
	.end_amdhsa_kernel
	.text
.Lfunc_end0:
	.size	bluestein_single_fwd_len8_dim1_sp_op_CI_CI, .Lfunc_end0-bluestein_single_fwd_len8_dim1_sp_op_CI_CI
                                        ; -- End function
	.section	.AMDGPU.csdata,"",@progbits
; Kernel info:
; codeLenInByte = 1712
; NumSgprs: 20
; NumVgprs: 34
; ScratchSize: 0
; MemoryBound: 0
; FloatMode: 240
; IeeeMode: 1
; LDSByteSize: 1024 bytes/workgroup (compile time only)
; SGPRBlocks: 2
; VGPRBlocks: 8
; NumSGPRsForWavesPerEU: 20
; NumVGPRsForWavesPerEU: 34
; Occupancy: 7
; WaveLimiterHint : 1
; COMPUTE_PGM_RSRC2:SCRATCH_EN: 0
; COMPUTE_PGM_RSRC2:USER_SGPR: 6
; COMPUTE_PGM_RSRC2:TRAP_HANDLER: 0
; COMPUTE_PGM_RSRC2:TGID_X_EN: 1
; COMPUTE_PGM_RSRC2:TGID_Y_EN: 0
; COMPUTE_PGM_RSRC2:TGID_Z_EN: 0
; COMPUTE_PGM_RSRC2:TIDIG_COMP_CNT: 0
	.type	__hip_cuid_d814a451a1820d2e,@object ; @__hip_cuid_d814a451a1820d2e
	.section	.bss,"aw",@nobits
	.globl	__hip_cuid_d814a451a1820d2e
__hip_cuid_d814a451a1820d2e:
	.byte	0                               ; 0x0
	.size	__hip_cuid_d814a451a1820d2e, 1

	.ident	"AMD clang version 19.0.0git (https://github.com/RadeonOpenCompute/llvm-project roc-6.4.0 25133 c7fe45cf4b819c5991fe208aaa96edf142730f1d)"
	.section	".note.GNU-stack","",@progbits
	.addrsig
	.addrsig_sym __hip_cuid_d814a451a1820d2e
	.amdgpu_metadata
---
amdhsa.kernels:
  - .args:
      - .actual_access:  read_only
        .address_space:  global
        .offset:         0
        .size:           8
        .value_kind:     global_buffer
      - .actual_access:  read_only
        .address_space:  global
        .offset:         8
        .size:           8
        .value_kind:     global_buffer
      - .actual_access:  read_only
        .address_space:  global
        .offset:         16
        .size:           8
        .value_kind:     global_buffer
      - .actual_access:  read_only
        .address_space:  global
        .offset:         24
        .size:           8
        .value_kind:     global_buffer
      - .actual_access:  read_only
        .address_space:  global
        .offset:         32
        .size:           8
        .value_kind:     global_buffer
      - .offset:         40
        .size:           8
        .value_kind:     by_value
      - .address_space:  global
        .offset:         48
        .size:           8
        .value_kind:     global_buffer
      - .address_space:  global
        .offset:         56
        .size:           8
        .value_kind:     global_buffer
      - .address_space:  global
        .offset:         64
        .size:           8
        .value_kind:     global_buffer
      - .address_space:  global
        .offset:         72
        .size:           8
        .value_kind:     global_buffer
      - .offset:         80
        .size:           4
        .value_kind:     by_value
      - .address_space:  global
        .offset:         88
        .size:           8
        .value_kind:     global_buffer
      - .address_space:  global
        .offset:         96
        .size:           8
        .value_kind:     global_buffer
    .group_segment_fixed_size: 1024
    .kernarg_segment_align: 8
    .kernarg_segment_size: 104
    .language:       OpenCL C
    .language_version:
      - 2
      - 0
    .max_flat_workgroup_size: 64
    .name:           bluestein_single_fwd_len8_dim1_sp_op_CI_CI
    .private_segment_fixed_size: 0
    .sgpr_count:     20
    .sgpr_spill_count: 0
    .symbol:         bluestein_single_fwd_len8_dim1_sp_op_CI_CI.kd
    .uniform_work_group_size: 1
    .uses_dynamic_stack: false
    .vgpr_count:     34
    .vgpr_spill_count: 0
    .wavefront_size: 64
amdhsa.target:   amdgcn-amd-amdhsa--gfx906
amdhsa.version:
  - 1
  - 2
...

	.end_amdgpu_metadata
